;; amdgpu-corpus repo=ROCm/rocFFT kind=compiled arch=gfx950 opt=O3
	.text
	.amdgcn_target "amdgcn-amd-amdhsa--gfx950"
	.amdhsa_code_object_version 6
	.protected	fft_rtc_back_len121_factors_11_11_wgs_121_tpt_11_half_op_CI_CI_sbrc_erc_z_xy_aligned ; -- Begin function fft_rtc_back_len121_factors_11_11_wgs_121_tpt_11_half_op_CI_CI_sbrc_erc_z_xy_aligned
	.globl	fft_rtc_back_len121_factors_11_11_wgs_121_tpt_11_half_op_CI_CI_sbrc_erc_z_xy_aligned
	.p2align	8
	.type	fft_rtc_back_len121_factors_11_11_wgs_121_tpt_11_half_op_CI_CI_sbrc_erc_z_xy_aligned,@function
fft_rtc_back_len121_factors_11_11_wgs_121_tpt_11_half_op_CI_CI_sbrc_erc_z_xy_aligned: ; @fft_rtc_back_len121_factors_11_11_wgs_121_tpt_11_half_op_CI_CI_sbrc_erc_z_xy_aligned
; %bb.0:
	s_load_dwordx8 s[4:11], s[0:1], 0x0
	s_mov_b32 s28, 0xbbad
	s_mov_b32 s29, 0xb482
	s_movk_i32 s31, 0x3482
	v_cmp_gt_u32_e32 vcc, 11, v0
	s_waitcnt lgkmcnt(0)
	s_load_dwordx4 s[12:15], s[8:9], 0x8
	s_load_dwordx4 s[16:19], s[10:11], 0x0
	s_waitcnt lgkmcnt(0)
	s_load_dword s19, s[10:11], 0x10
	s_add_i32 s3, s12, -1
	s_mul_hi_u32 s3, s3, 0xba2e8ba3
	s_lshr_b32 s3, s3, 3
	s_add_i32 s20, s3, 1
	s_mul_i32 s21, s20, s14
	v_cvt_f32_u32_e32 v2, s21
	v_cvt_f32_u32_e32 v1, s20
	s_sub_i32 s22, 0, s21
	s_load_dwordx2 s[8:9], s[0:1], 0x20
	v_rcp_iflag_f32_e32 v2, v2
	v_rcp_iflag_f32_e32 v1, v1
	s_waitcnt lgkmcnt(0)
	s_load_dwordx4 s[12:15], s[8:9], 0x0
	v_mul_f32_e32 v2, 0x4f7ffffe, v2
	v_cvt_u32_f32_e32 v2, v2
	v_mul_f32_e32 v1, 0x4f7ffffe, v1
	v_cvt_u32_f32_e32 v1, v1
	s_waitcnt lgkmcnt(0)
	s_load_dword s15, s[8:9], 0x10
	v_readfirstlane_b32 s24, v2
	s_mul_i32 s22, s22, s24
	s_mul_hi_u32 s22, s24, s22
	s_add_i32 s24, s24, s22
	s_mul_hi_u32 s22, s2, s24
	s_mul_i32 s24, s22, s21
	s_sub_i32 s24, s2, s24
	s_add_i32 s25, s22, 1
	s_sub_i32 s26, s24, s21
	s_cmp_ge_u32 s24, s21
	s_cselect_b32 s22, s25, s22
	s_cselect_b32 s24, s26, s24
	s_add_i32 s25, s22, 1
	s_cmp_ge_u32 s24, s21
	v_readfirstlane_b32 s23, v1
	s_cselect_b32 s27, s25, s22
	s_not_b32 s3, s3
	s_mul_i32 s3, s3, s23
	s_mul_i32 s21, s27, s21
	s_mul_hi_u32 s3, s23, s3
	s_sub_i32 s21, s2, s21
	s_add_i32 s23, s23, s3
	s_mul_hi_u32 s3, s21, s23
	s_mul_i32 s22, s3, s20
	s_sub_i32 s21, s21, s22
	s_add_i32 s22, s3, 1
	s_sub_i32 s24, s21, s20
	s_cmp_ge_u32 s21, s20
	s_cselect_b32 s3, s22, s3
	s_cselect_b32 s21, s24, s21
	s_add_i32 s22, s3, 1
	s_cmp_ge_u32 s21, s20
	s_cselect_b32 s30, s22, s3
	s_mul_hi_u32 s3, s2, s23
	s_mul_i32 s3, s3, s20
	s_sub_i32 s2, s2, s3
	s_sub_i32 s3, s2, s20
	s_cmp_ge_u32 s2, s20
	s_cselect_b32 s2, s3, s2
	s_sub_i32 s3, s2, s20
	s_cmp_ge_u32 s2, s20
	s_cselect_b32 s2, s3, s2
	s_mul_i32 s2, s2, 11
	s_mul_i32 s3, s30, s19
	;; [unrolled: 1-line block ×3, first 2 shown]
	s_add_i32 s20, s19, s3
	s_mul_i32 s3, s13, s2
	s_mul_hi_u32 s19, s12, s2
	s_add_i32 s3, s19, s3
	s_lshl_b64 s[6:7], s[6:7], 3
	s_add_u32 s10, s10, s6
	s_addc_u32 s11, s11, s7
	s_load_dwordx2 s[22:23], s[10:11], 0x0
	v_mul_u32_u24_e32 v1, 0x21e, v0
	v_lshrrev_b32_e32 v22, 16, v1
	v_mul_lo_u16_e32 v1, 0x79, v22
	v_sub_u16_e32 v23, v0, v1
	s_waitcnt lgkmcnt(0)
	s_mul_i32 s10, s23, s27
	s_mul_hi_u32 s11, s22, s27
	s_add_i32 s23, s11, s10
	s_add_u32 s24, s8, s6
	s_addc_u32 s25, s9, s7
	s_load_dwordx2 s[6:7], s[24:25], 0x0
	s_load_dwordx4 s[8:11], s[0:1], 0x58
	v_mad_u64_u32 v[4:5], s[24:25], s16, v23, 0
	v_mov_b32_e32 v2, v5
	s_mul_i32 s22, s22, s27
	s_waitcnt lgkmcnt(0)
	s_mul_i32 s0, s7, s27
	s_mul_hi_u32 s1, s6, s27
	v_mad_u64_u32 v[2:3], s[16:17], s17, v23, v[2:3]
	s_add_i32 s1, s1, s0
	s_lshl_b64 s[16:17], s[22:23], 2
	s_mov_b32 s21, 0
	s_add_u32 s0, s8, s16
	s_addc_u32 s7, s9, s17
	s_lshl_b64 s[8:9], s[20:21], 2
	s_add_u32 s8, s0, s8
	v_mov_b32_e32 v5, v2
	s_addc_u32 s9, s7, s9
	v_mul_lo_u32 v2, s18, v22
	v_mov_b32_e32 v3, 0
	v_lshl_add_u64 v[4:5], v[4:5], 2, s[8:9]
	v_lshl_add_u64 v[6:7], v[2:3], 2, v[4:5]
	v_add_u32_e32 v2, s18, v2
	v_lshl_add_u64 v[8:9], v[2:3], 2, v[4:5]
	v_add_u32_e32 v2, s18, v2
	;; [unrolled: 2-line block ×8, first 2 shown]
	global_load_dword v24, v[6:7], off
	global_load_dword v25, v[8:9], off
	global_load_dword v26, v[10:11], off
	global_load_dword v27, v[12:13], off
	global_load_dword v28, v[14:15], off
	global_load_dword v29, v[16:17], off
	global_load_dword v30, v[18:19], off
	global_load_dword v31, v[20:21], off
	v_lshl_add_u64 v[6:7], v[2:3], 2, v[4:5]
	v_add_u32_e32 v2, s18, v2
	v_lshl_add_u64 v[8:9], v[2:3], 2, v[4:5]
	v_add_u32_e32 v2, s18, v2
	v_lshl_add_u64 v[4:5], v[2:3], 2, v[4:5]
	global_load_dword v10, v[6:7], off
	global_load_dword v11, v[8:9], off
	;; [unrolled: 1-line block ×3, first 2 shown]
	v_mul_u32_u24_e32 v1, 0x1746, v0
	v_lshrrev_b32_e32 v1, 16, v1
	v_mul_u32_u24_e32 v2, 0x1e8, v22
	v_lshlrev_b32_e32 v5, 2, v23
	s_mov_b32 s0, 0xba2e8ba3
	v_add3_u32 v5, 0, v2, v5
	v_add_u32_e32 v2, s2, v1
	v_mul_hi_u32 v14, v2, s0
	v_lshrrev_b32_e32 v14, 3, v14
	v_mul_lo_u32 v14, v14, 11
	v_mul_lo_u16_e32 v4, 11, v1
	v_sub_u32_e32 v2, v2, v14
	v_sub_u16_e32 v4, v0, v4
	v_mul_u32_u24_e32 v2, 0x7a, v2
	v_lshlrev_b32_e32 v6, 2, v4
	v_lshlrev_b32_e32 v2, 2, v2
	v_add_u32_e32 v7, 0x200, v5
	v_add_u32_e32 v8, 0x600, v5
	;; [unrolled: 1-line block ×4, first 2 shown]
	v_add3_u32 v32, 0, v2, v6
	v_add3_u32 v2, 0, v6, v2
	s_mov_b32 s18, 0xb853
	s_mov_b32 s8, 0xbb47
	;; [unrolled: 1-line block ×4, first 2 shown]
	s_movk_i32 s19, 0x3abb
	s_movk_i32 s9, 0x36a6
	s_mov_b32 s17, 0xb08e
	s_mov_b32 s25, 0xb93d
	s_movk_i32 s22, 0x3853
	s_movk_i32 s16, 0x3b47
	s_movk_i32 s23, 0x3beb
	s_movk_i32 s26, 0x3a0c
	v_mad_u32_u24 v16, v4, 40, v2
	s_mul_i32 s2, s12, s2
	s_lshl_b64 s[2:3], s[2:3], 2
	s_mul_i32 s20, s30, s14
	s_waitcnt vmcnt(9)
	ds_write2_b32 v5, v24, v25 offset1:122
	s_waitcnt vmcnt(7)
	ds_write2_b32 v7, v26, v27 offset0:116 offset1:238
	s_waitcnt vmcnt(5)
	ds_write2_b32 v8, v28, v29 offset0:104 offset1:226
	;; [unrolled: 2-line block ×4, first 2 shown]
	s_waitcnt vmcnt(0)
	ds_write_b32 v5, v12 offset:4880
	s_waitcnt lgkmcnt(0)
	s_barrier
	ds_read_b32 v5, v32
	ds_read2_b32 v[6:7], v2 offset0:11 offset1:22
	ds_read2_b32 v[8:9], v2 offset0:33 offset1:44
	ds_read2_b32 v[10:11], v2 offset0:55 offset1:66
	ds_read2_b32 v[12:13], v2 offset0:77 offset1:88
	ds_read2_b32 v[14:15], v2 offset0:99 offset1:110
	s_waitcnt lgkmcnt(4)
	v_alignbit_b32 v18, s0, v6, 16
	v_pk_add_f16 v17, v6, v5 op_sel_hi:[1,0]
	v_alignbit_b32 v19, s0, v7, 16
	v_pk_add_f16 v18, v18, v5 op_sel:[0,1] op_sel_hi:[1,0]
	v_pk_add_f16 v17, v17, v7
	v_pk_add_f16 v18, v18, v19
	s_waitcnt lgkmcnt(3)
	v_alignbit_b32 v19, s0, v8, 16
	v_pk_add_f16 v17, v17, v8
	v_pk_add_f16 v18, v18, v19
	v_alignbit_b32 v19, s0, v9, 16
	v_pk_add_f16 v17, v17, v9
	v_pk_add_f16 v18, v18, v19
	s_waitcnt lgkmcnt(2)
	v_alignbit_b32 v19, s0, v10, 16
	v_pk_add_f16 v17, v17, v10
	v_pk_add_f16 v18, v18, v19
	v_alignbit_b32 v19, s0, v11, 16
	;; [unrolled: 7-line block ×4, first 2 shown]
	v_pk_add_f16 v17, v17, v15
	v_pk_add_f16 v18, v18, v19
	s_mov_b32 s0, 0x1000504
	v_perm_b32 v17, v17, v18, s0
	v_pk_add_f16 v18, v15, v6
	v_pk_add_f16 v6, v6, v15 neg_lo:[0,1] neg_hi:[0,1]
	v_mul_f16_sdwa v20, v18, s19 dst_sel:DWORD dst_unused:UNUSED_PAD src0_sel:WORD_1 src1_sel:DWORD
	v_mul_f16_sdwa v15, v6, s18 dst_sel:DWORD dst_unused:UNUSED_PAD src0_sel:WORD_1 src1_sel:DWORD
	;; [unrolled: 1-line block ×5, first 2 shown]
	v_fma_f16 v19, v18, s19, v15
	v_fma_f16 v15, v18, s19, -v15
	v_fma_f16 v23, v18, s9, v22
	v_mul_f16_sdwa v24, v18, s9 dst_sel:DWORD dst_unused:UNUSED_PAD src0_sel:WORD_1 src1_sel:DWORD
	v_fma_f16 v22, v18, s9, -v22
	v_fma_f16 v27, v18, s17, v26
	v_mul_f16_sdwa v28, v18, s17 dst_sel:DWORD dst_unused:UNUSED_PAD src0_sel:WORD_1 src1_sel:DWORD
	;; [unrolled: 3-line block ×3, first 2 shown]
	v_fma_f16 v30, v18, s25, -v30
	v_pk_mul_f16 v18, v18, s28 op_sel_hi:[1,0]
	v_fma_f16 v21, v6, s22, v20
	v_fma_f16 v20, v6, s18, v20
	;; [unrolled: 1-line block ×8, first 2 shown]
	v_pk_fma_f16 v35, v6, s29, v18 op_sel:[0,0,1] op_sel_hi:[1,0,0]
	v_pk_fma_f16 v6, v6, s29, v18 op_sel:[0,0,1] op_sel_hi:[1,0,0] neg_lo:[1,0,0] neg_hi:[1,0,0]
	v_add_f16_e32 v19, v19, v5
	v_add_f16_sdwa v21, v21, v5 dst_sel:DWORD dst_unused:UNUSED_PAD src0_sel:DWORD src1_sel:WORD_1
	v_add_f16_e32 v15, v15, v5
	v_add_f16_sdwa v20, v20, v5 dst_sel:DWORD dst_unused:UNUSED_PAD src0_sel:DWORD src1_sel:WORD_1
	;; [unrolled: 2-line block ×8, first 2 shown]
	v_pk_add_f16 v35, v35, v5 op_sel:[0,1] op_sel_hi:[1,0]
	v_pk_add_f16 v5, v6, v5 op_sel:[0,1] op_sel_hi:[1,0]
	v_pk_add_f16 v6, v14, v7
	v_pk_add_f16 v7, v7, v14 neg_lo:[0,1] neg_hi:[0,1]
	s_nop 0
	v_mul_f16_sdwa v14, v7, s8 dst_sel:DWORD dst_unused:UNUSED_PAD src0_sel:WORD_1 src1_sel:DWORD
	v_fma_f16 v18, v6, s9, v14
	v_add_f16_e32 v18, v18, v19
	v_mul_f16_sdwa v19, v6, s9 dst_sel:DWORD dst_unused:UNUSED_PAD src0_sel:WORD_1 src1_sel:DWORD
	v_fma_f16 v14, v6, s9, -v14
	v_fma_f16 v36, v7, s16, v19
	v_add_f16_e32 v14, v14, v15
	v_fma_f16 v15, v7, s8, v19
	v_mul_f16_sdwa v19, v7, s24 dst_sel:DWORD dst_unused:UNUSED_PAD src0_sel:WORD_1 src1_sel:DWORD
	v_add_f16_e32 v15, v15, v20
	v_fma_f16 v20, v6, s25, v19
	v_add_f16_e32 v20, v20, v23
	v_mul_f16_sdwa v23, v6, s25 dst_sel:DWORD dst_unused:UNUSED_PAD src0_sel:WORD_1 src1_sel:DWORD
	v_fma_f16 v19, v6, s25, -v19
	v_add_f16_e32 v21, v36, v21
	v_fma_f16 v36, v7, s26, v23
	v_add_f16_e32 v19, v19, v22
	v_fma_f16 v22, v7, s24, v23
	v_mul_f16_sdwa v23, v7, s31 dst_sel:DWORD dst_unused:UNUSED_PAD src0_sel:WORD_1 src1_sel:DWORD
	v_add_f16_e32 v22, v22, v24
	v_fma_f16 v24, v6, s28, v23
	v_add_f16_e32 v24, v24, v27
	v_mul_f16_sdwa v27, v6, s28 dst_sel:DWORD dst_unused:UNUSED_PAD src0_sel:WORD_1 src1_sel:DWORD
	v_fma_f16 v23, v6, s28, -v23
	v_add_f16_e32 v25, v36, v25
	v_fma_f16 v36, v7, s29, v27
	v_add_f16_e32 v23, v23, v26
	v_fma_f16 v26, v7, s31, v27
	v_mul_f16_sdwa v27, v7, s23 dst_sel:DWORD dst_unused:UNUSED_PAD src0_sel:WORD_1 src1_sel:DWORD
	v_add_f16_e32 v26, v26, v28
	v_fma_f16 v28, v6, s17, v27
	v_add_f16_e32 v28, v28, v31
	v_mul_f16_sdwa v31, v6, s17 dst_sel:DWORD dst_unused:UNUSED_PAD src0_sel:WORD_1 src1_sel:DWORD
	v_fma_f16 v27, v6, s17, -v27
	v_pk_mul_f16 v6, v6, s19 op_sel_hi:[1,0]
	v_add_f16_e32 v29, v36, v29
	v_fma_f16 v36, v7, s7, v31
	v_add_f16_e32 v27, v27, v30
	v_fma_f16 v30, v7, s23, v31
	v_pk_fma_f16 v31, v7, s22, v6 op_sel:[0,0,1] op_sel_hi:[1,0,0]
	v_pk_fma_f16 v6, v7, s22, v6 op_sel:[0,0,1] op_sel_hi:[1,0,0] neg_lo:[1,0,0] neg_hi:[1,0,0]
	v_pk_add_f16 v7, v8, v13 neg_lo:[0,1] neg_hi:[0,1]
	v_pk_add_f16 v5, v6, v5
	v_pk_add_f16 v6, v13, v8
	v_mul_f16_sdwa v8, v7, s7 dst_sel:DWORD dst_unused:UNUSED_PAD src0_sel:WORD_1 src1_sel:DWORD
	v_fma_f16 v13, v6, s17, v8
	v_add_f16_e32 v13, v13, v18
	v_mul_f16_sdwa v18, v6, s17 dst_sel:DWORD dst_unused:UNUSED_PAD src0_sel:WORD_1 src1_sel:DWORD
	v_fma_f16 v8, v6, s17, -v8
	v_add_f16_e32 v8, v8, v14
	v_fma_f16 v14, v7, s7, v18
	v_add_f16_e32 v14, v14, v15
	v_mul_f16_sdwa v15, v7, s31 dst_sel:DWORD dst_unused:UNUSED_PAD src0_sel:WORD_1 src1_sel:DWORD
	v_add_f16_e32 v30, v30, v33
	v_fma_f16 v33, v7, s23, v18
	v_fma_f16 v18, v6, s28, v15
	v_add_f16_e32 v18, v18, v20
	v_mul_f16_sdwa v20, v6, s28 dst_sel:DWORD dst_unused:UNUSED_PAD src0_sel:WORD_1 src1_sel:DWORD
	v_fma_f16 v15, v6, s28, -v15
	v_add_f16_e32 v21, v33, v21
	v_fma_f16 v33, v7, s29, v20
	v_add_f16_e32 v15, v15, v19
	v_fma_f16 v19, v7, s31, v20
	v_mul_f16_sdwa v20, v7, s16 dst_sel:DWORD dst_unused:UNUSED_PAD src0_sel:WORD_1 src1_sel:DWORD
	v_add_f16_e32 v19, v19, v22
	v_fma_f16 v22, v6, s9, v20
	v_add_f16_e32 v22, v22, v24
	v_mul_f16_sdwa v24, v6, s9 dst_sel:DWORD dst_unused:UNUSED_PAD src0_sel:WORD_1 src1_sel:DWORD
	v_fma_f16 v20, v6, s9, -v20
	v_add_f16_e32 v25, v33, v25
	v_fma_f16 v33, v7, s8, v24
	v_add_f16_e32 v20, v20, v23
	v_fma_f16 v23, v7, s16, v24
	v_mul_f16_sdwa v24, v7, s18 dst_sel:DWORD dst_unused:UNUSED_PAD src0_sel:WORD_1 src1_sel:DWORD
	v_add_f16_e32 v23, v23, v26
	v_fma_f16 v26, v6, s19, v24
	v_add_f16_e32 v26, v26, v28
	v_mul_f16_sdwa v28, v6, s19 dst_sel:DWORD dst_unused:UNUSED_PAD src0_sel:WORD_1 src1_sel:DWORD
	v_fma_f16 v24, v6, s19, -v24
	v_pk_mul_f16 v6, v6, s25 op_sel_hi:[1,0]
	v_add_f16_e32 v29, v33, v29
	v_fma_f16 v33, v7, s22, v28
	v_add_f16_e32 v24, v24, v27
	v_fma_f16 v27, v7, s18, v28
	v_pk_fma_f16 v28, v7, s24, v6 op_sel:[0,0,1] op_sel_hi:[1,0,0]
	v_pk_fma_f16 v6, v7, s24, v6 op_sel:[0,0,1] op_sel_hi:[1,0,0] neg_lo:[1,0,0] neg_hi:[1,0,0]
	v_pk_add_f16 v7, v9, v12 neg_lo:[0,1] neg_hi:[0,1]
	v_pk_add_f16 v5, v6, v5
	v_pk_add_f16 v6, v12, v9
	v_mul_f16_sdwa v9, v7, s24 dst_sel:DWORD dst_unused:UNUSED_PAD src0_sel:WORD_1 src1_sel:DWORD
	v_fma_f16 v12, v6, s25, v9
	v_add_f16_e32 v12, v12, v13
	v_mul_f16_sdwa v13, v6, s25 dst_sel:DWORD dst_unused:UNUSED_PAD src0_sel:WORD_1 src1_sel:DWORD
	v_fma_f16 v9, v6, s25, -v9
	v_add_f16_e32 v27, v27, v30
	v_fma_f16 v30, v7, s26, v13
	v_add_f16_e32 v8, v9, v8
	v_fma_f16 v9, v7, s24, v13
	v_mul_f16_sdwa v13, v7, s23 dst_sel:DWORD dst_unused:UNUSED_PAD src0_sel:WORD_1 src1_sel:DWORD
	v_add_f16_e32 v9, v9, v14
	v_fma_f16 v14, v6, s17, v13
	v_add_f16_e32 v14, v14, v18
	v_mul_f16_sdwa v18, v6, s17 dst_sel:DWORD dst_unused:UNUSED_PAD src0_sel:WORD_1 src1_sel:DWORD
	v_fma_f16 v13, v6, s17, -v13
	v_add_f16_e32 v21, v30, v21
	v_fma_f16 v30, v7, s7, v18
	v_add_f16_e32 v13, v13, v15
	v_fma_f16 v15, v7, s23, v18
	v_mul_f16_sdwa v18, v7, s18 dst_sel:DWORD dst_unused:UNUSED_PAD src0_sel:WORD_1 src1_sel:DWORD
	v_add_f16_e32 v15, v15, v19
	;; [unrolled: 10-line block ×3, first 2 shown]
	v_fma_f16 v23, v6, s28, v22
	v_add_f16_e32 v23, v23, v26
	v_mul_f16_sdwa v26, v6, s28 dst_sel:DWORD dst_unused:UNUSED_PAD src0_sel:WORD_1 src1_sel:DWORD
	v_fma_f16 v22, v6, s28, -v22
	v_pk_mul_f16 v6, v6, s9 op_sel_hi:[1,0]
	v_add_f16_e32 v29, v30, v29
	v_fma_f16 v30, v7, s31, v26
	v_add_f16_e32 v22, v22, v24
	v_fma_f16 v24, v7, s29, v26
	v_pk_fma_f16 v26, v7, s16, v6 op_sel:[0,0,1] op_sel_hi:[1,0,0]
	v_pk_fma_f16 v6, v7, s16, v6 op_sel:[0,0,1] op_sel_hi:[1,0,0] neg_lo:[1,0,0] neg_hi:[1,0,0]
	v_pk_add_f16 v7, v10, v11 neg_lo:[0,1] neg_hi:[0,1]
	v_pk_add_f16 v5, v6, v5
	v_pk_add_f16 v6, v11, v10
	v_mul_f16_sdwa v10, v7, s29 dst_sel:DWORD dst_unused:UNUSED_PAD src0_sel:WORD_1 src1_sel:DWORD
	v_fma_f16 v11, v6, s28, v10
	v_add_f16_e32 v11, v11, v12
	v_mul_f16_sdwa v12, v6, s28 dst_sel:DWORD dst_unused:UNUSED_PAD src0_sel:WORD_1 src1_sel:DWORD
	v_fma_f16 v10, v6, s28, -v10
	v_add_f16_e32 v8, v10, v8
	v_fma_f16 v10, v7, s29, v12
	v_add_f16_e32 v9, v10, v9
	v_mul_f16_sdwa v10, v7, s22 dst_sel:DWORD dst_unused:UNUSED_PAD src0_sel:WORD_1 src1_sel:DWORD
	v_add_f16_e32 v24, v24, v27
	v_fma_f16 v27, v7, s31, v12
	v_fma_f16 v12, v6, s19, v10
	v_add_f16_e32 v12, v12, v14
	v_mul_f16_sdwa v14, v6, s19 dst_sel:DWORD dst_unused:UNUSED_PAD src0_sel:WORD_1 src1_sel:DWORD
	v_fma_f16 v10, v6, s19, -v10
	v_add_f16_e32 v21, v27, v21
	v_fma_f16 v27, v7, s18, v14
	v_add_f16_e32 v10, v10, v13
	v_fma_f16 v13, v7, s22, v14
	v_mul_f16_sdwa v14, v7, s24 dst_sel:DWORD dst_unused:UNUSED_PAD src0_sel:WORD_1 src1_sel:DWORD
	v_add_f16_e32 v13, v13, v15
	v_fma_f16 v15, v6, s25, v14
	v_add_f16_e32 v15, v15, v19
	v_mul_f16_sdwa v19, v6, s25 dst_sel:DWORD dst_unused:UNUSED_PAD src0_sel:WORD_1 src1_sel:DWORD
	v_fma_f16 v14, v6, s25, -v14
	v_add_f16_e32 v25, v27, v25
	v_fma_f16 v27, v7, s26, v19
	v_add_f16_e32 v14, v14, v18
	v_fma_f16 v18, v7, s24, v19
	v_mul_f16_sdwa v19, v7, s16 dst_sel:DWORD dst_unused:UNUSED_PAD src0_sel:WORD_1 src1_sel:DWORD
	v_add_f16_e32 v34, v36, v34
	v_pk_add_f16 v31, v31, v35
	v_add_f16_e32 v18, v18, v20
	v_fma_f16 v20, v6, s9, v19
	v_add_f16_e32 v33, v33, v34
	v_pk_add_f16 v28, v28, v31
	v_add_f16_e32 v20, v20, v23
	v_mul_f16_sdwa v23, v6, s9 dst_sel:DWORD dst_unused:UNUSED_PAD src0_sel:WORD_1 src1_sel:DWORD
	v_fma_f16 v19, v6, s9, -v19
	v_pk_mul_f16 v6, v6, s17 op_sel_hi:[1,0]
	v_add_f16_e32 v30, v30, v33
	v_pk_add_f16 v26, v26, v28
	v_fma_f16 v28, v7, s8, v23
	v_add_f16_e32 v19, v19, v22
	v_fma_f16 v22, v7, s16, v23
	v_pk_fma_f16 v23, v7, s7, v6 op_sel:[0,0,1] op_sel_hi:[1,0,0]
	v_pk_fma_f16 v6, v7, s7, v6 op_sel:[0,0,1] op_sel_hi:[1,0,0] neg_lo:[1,0,0] neg_hi:[1,0,0]
	v_add_f16_e32 v27, v27, v29
	v_add_f16_e32 v28, v28, v30
	v_pk_add_f16 v5, v6, v5
	v_pack_b32_f16 v6, v12, v25
	v_pack_b32_f16 v7, v11, v21
	v_pk_add_f16 v23, v23, v26
	s_barrier
	ds_write2_b32 v16, v7, v6 offset0:1 offset1:2
	v_pack_b32_f16 v6, v20, v28
	v_pack_b32_f16 v7, v15, v27
	v_add_f16_e32 v22, v22, v24
	ds_write2_b32 v16, v7, v6 offset0:3 offset1:4
	v_alignbit_b32 v6, v23, v5, 16
	v_alignbit_b32 v5, v5, v23, 16
	ds_write2_b32 v16, v5, v6 offset0:5 offset1:6
	v_pack_b32_f16 v5, v14, v18
	v_pack_b32_f16 v6, v19, v22
	ds_write2_b32 v16, v6, v5 offset0:7 offset1:8
	v_pack_b32_f16 v5, v8, v9
	v_pack_b32_f16 v6, v10, v13
	ds_write2_b32 v16, v6, v5 offset0:9 offset1:10
	v_mul_u32_u24_e32 v5, 10, v4
	v_lshlrev_b32_e32 v5, 2, v5
	ds_write_b32 v16, v17
	s_waitcnt lgkmcnt(0)
	s_barrier
	global_load_dwordx4 v[6:9], v5, s[4:5]
	global_load_dwordx4 v[10:13], v5, s[4:5] offset:16
	global_load_dwordx2 v[14:15], v5, s[4:5] offset:32
	ds_read2_b32 v[16:17], v2 offset0:11 offset1:22
	ds_read2_b32 v[18:19], v2 offset0:33 offset1:44
	;; [unrolled: 1-line block ×5, first 2 shown]
	ds_read_b32 v5, v32
	ds_read_u16 v26, v2 offset:222
	s_waitcnt lgkmcnt(6)
	v_lshrrev_b32_e32 v32, 16, v16
	s_waitcnt lgkmcnt(4)
	v_lshrrev_b32_e32 v27, 16, v21
	;; [unrolled: 2-line block ×3, first 2 shown]
	v_lshrrev_b32_e32 v29, 16, v23
	s_waitcnt lgkmcnt(2)
	v_lshrrev_b32_e32 v30, 16, v24
	v_lshrrev_b32_e32 v31, 16, v25
	s_waitcnt lgkmcnt(0)
	s_barrier
	s_mul_i32 s0, s6, s27
	s_waitcnt vmcnt(2)
	v_mul_f16_sdwa v33, v6, v32 dst_sel:DWORD dst_unused:UNUSED_PAD src0_sel:WORD_1 src1_sel:DWORD
	v_fma_f16 v33, v6, v16, v33
	v_mul_f16_sdwa v16, v6, v16 dst_sel:DWORD dst_unused:UNUSED_PAD src0_sel:WORD_1 src1_sel:DWORD
	v_fma_f16 v6, v6, v32, -v16
	v_lshrrev_b32_e32 v16, 16, v17
	v_mul_f16_sdwa v32, v7, v16 dst_sel:DWORD dst_unused:UNUSED_PAD src0_sel:WORD_1 src1_sel:DWORD
	v_fma_f16 v32, v7, v17, v32
	v_mul_f16_sdwa v17, v7, v17 dst_sel:DWORD dst_unused:UNUSED_PAD src0_sel:WORD_1 src1_sel:DWORD
	v_fma_f16 v7, v7, v16, -v17
	v_lshrrev_b32_e32 v16, 16, v18
	;; [unrolled: 5-line block ×3, first 2 shown]
	v_mul_f16_sdwa v18, v9, v16 dst_sel:DWORD dst_unused:UNUSED_PAD src0_sel:WORD_1 src1_sel:DWORD
	v_fma_f16 v18, v9, v19, v18
	v_mul_f16_sdwa v19, v9, v19 dst_sel:DWORD dst_unused:UNUSED_PAD src0_sel:WORD_1 src1_sel:DWORD
	v_fma_f16 v9, v9, v16, -v19
	s_waitcnt vmcnt(1)
	v_mul_f16_sdwa v16, v26, v10 dst_sel:DWORD dst_unused:UNUSED_PAD src0_sel:DWORD src1_sel:WORD_1
	v_mul_f16_sdwa v19, v10, v20 dst_sel:DWORD dst_unused:UNUSED_PAD src0_sel:WORD_1 src1_sel:DWORD
	v_fma_f16 v16, v10, v20, v16
	v_fma_f16 v10, v26, v10, -v19
	v_mul_f16_sdwa v19, v27, v11 dst_sel:DWORD dst_unused:UNUSED_PAD src0_sel:DWORD src1_sel:WORD_1
	v_mul_f16_sdwa v20, v21, v11 dst_sel:DWORD dst_unused:UNUSED_PAD src0_sel:DWORD src1_sel:WORD_1
	v_fma_f16 v19, v21, v11, v19
	v_fma_f16 v11, v27, v11, -v20
	v_mul_f16_sdwa v20, v28, v12 dst_sel:DWORD dst_unused:UNUSED_PAD src0_sel:DWORD src1_sel:WORD_1
	v_mul_f16_sdwa v21, v22, v12 dst_sel:DWORD dst_unused:UNUSED_PAD src0_sel:DWORD src1_sel:WORD_1
	;; [unrolled: 4-line block ×3, first 2 shown]
	v_fma_f16 v21, v23, v13, v21
	v_fma_f16 v13, v29, v13, -v22
	s_waitcnt vmcnt(0)
	v_mul_f16_sdwa v22, v30, v14 dst_sel:DWORD dst_unused:UNUSED_PAD src0_sel:DWORD src1_sel:WORD_1
	v_mul_f16_sdwa v23, v24, v14 dst_sel:DWORD dst_unused:UNUSED_PAD src0_sel:DWORD src1_sel:WORD_1
	v_fma_f16 v22, v24, v14, v22
	v_fma_f16 v14, v30, v14, -v23
	v_mul_f16_sdwa v23, v31, v15 dst_sel:DWORD dst_unused:UNUSED_PAD src0_sel:DWORD src1_sel:WORD_1
	v_mul_f16_sdwa v24, v25, v15 dst_sel:DWORD dst_unused:UNUSED_PAD src0_sel:DWORD src1_sel:WORD_1
	v_fma_f16 v23, v25, v15, v23
	v_fma_f16 v15, v31, v15, -v24
	v_add_f16_e32 v24, v33, v5
	v_add_f16_sdwa v25, v6, v5 dst_sel:DWORD dst_unused:UNUSED_PAD src0_sel:DWORD src1_sel:WORD_1
	v_add_f16_e32 v24, v24, v32
	v_add_f16_e32 v25, v25, v7
	;; [unrolled: 1-line block ×17, first 2 shown]
	v_add_f16_sdwa v25, v25, v15 dst_sel:WORD_1 dst_unused:UNUSED_PAD src0_sel:DWORD src1_sel:DWORD
	v_add_f16_e32 v26, v6, v15
	v_sub_f16_e32 v6, v6, v15
	v_or_b32_e32 v24, v25, v24
	v_add_f16_e32 v25, v33, v23
	v_sub_f16_e32 v23, v33, v23
	v_mul_f16_e32 v15, 0xb853, v6
	v_mul_f16_e32 v28, 0x3abb, v26
	;; [unrolled: 1-line block ×10, first 2 shown]
	v_fma_f16 v27, v25, s19, v15
	v_fma_f16 v29, v23, s22, v28
	v_fma_f16 v15, v25, s19, -v15
	v_fma_f16 v28, v23, s18, v28
	v_fma_f16 v31, v25, s9, v30
	v_fma_f16 v34, v23, s16, v33
	v_fma_f16 v30, v25, s9, -v30
	v_fma_f16 v33, v23, s8, v33
	;; [unrolled: 4-line block ×5, first 2 shown]
	v_add_f16_e32 v25, v7, v14
	v_sub_f16_e32 v7, v7, v14
	v_add_f16_e32 v27, v27, v5
	v_add_f16_sdwa v29, v29, v5 dst_sel:DWORD dst_unused:UNUSED_PAD src0_sel:DWORD src1_sel:WORD_1
	v_add_f16_e32 v15, v15, v5
	v_add_f16_sdwa v28, v28, v5 dst_sel:DWORD dst_unused:UNUSED_PAD src0_sel:DWORD src1_sel:WORD_1
	;; [unrolled: 2-line block ×10, first 2 shown]
	v_add_f16_e32 v23, v32, v22
	v_mul_f16_e32 v14, 0xbb47, v7
	v_fma_f16 v26, v23, s9, v14
	v_sub_f16_e32 v22, v32, v22
	v_add_f16_e32 v26, v26, v27
	v_mul_f16_e32 v27, 0x36a6, v25
	v_fma_f16 v14, v23, s9, -v14
	v_fma_f16 v32, v22, s16, v27
	v_add_f16_e32 v14, v14, v15
	v_fma_f16 v15, v22, s8, v27
	v_mul_f16_e32 v27, 0xba0c, v7
	v_add_f16_e32 v15, v15, v28
	v_fma_f16 v28, v23, s25, v27
	v_add_f16_e32 v28, v28, v31
	v_mul_f16_e32 v31, 0xb93d, v25
	v_fma_f16 v27, v23, s25, -v27
	v_add_f16_e32 v29, v32, v29
	v_fma_f16 v32, v22, s26, v31
	v_add_f16_e32 v27, v27, v30
	v_fma_f16 v30, v22, s24, v31
	v_mul_f16_e32 v31, 0x3482, v7
	v_add_f16_e32 v32, v32, v34
	v_add_f16_e32 v30, v30, v33
	v_fma_f16 v33, v23, s28, v31
	v_mul_f16_e32 v34, 0xbbad, v25
	v_fma_f16 v31, v23, s28, -v31
	v_add_f16_e32 v33, v33, v36
	v_fma_f16 v36, v22, s29, v34
	v_add_f16_e32 v31, v31, v35
	v_fma_f16 v34, v22, s31, v34
	v_mul_f16_e32 v35, 0x3beb, v7
	v_add_f16_e32 v36, v36, v38
	v_add_f16_e32 v34, v34, v37
	v_fma_f16 v37, v23, s17, v35
	v_mul_f16_e32 v38, 0xb08e, v25
	v_fma_f16 v35, v23, s17, -v35
	v_mul_f16_e32 v7, 0x3853, v7
	v_add_f16_e32 v37, v37, v40
	v_fma_f16 v40, v22, s7, v38
	v_add_f16_e32 v35, v35, v39
	v_fma_f16 v38, v22, s23, v38
	v_fma_f16 v39, v23, s19, v7
	v_mul_f16_e32 v25, 0x3abb, v25
	v_fma_f16 v7, v23, s19, -v7
	v_add_f16_e32 v38, v38, v41
	v_fma_f16 v41, v22, s18, v25
	v_add_f16_e32 v6, v7, v6
	v_fma_f16 v7, v22, s22, v25
	v_add_f16_e32 v22, v8, v13
	v_sub_f16_e32 v8, v8, v13
	v_add_f16_e32 v5, v7, v5
	v_add_f16_e32 v7, v17, v21
	v_mul_f16_e32 v13, 0xbbeb, v8
	v_sub_f16_e32 v17, v17, v21
	v_fma_f16 v21, v7, s17, v13
	v_mul_f16_e32 v23, 0xb08e, v22
	v_fma_f16 v13, v7, s17, -v13
	v_add_f16_e32 v13, v13, v14
	v_fma_f16 v14, v17, s7, v23
	v_add_f16_e32 v14, v14, v15
	v_mul_f16_e32 v15, 0x3482, v8
	v_fma_f16 v25, v17, s23, v23
	v_fma_f16 v23, v7, s28, v15
	v_fma_f16 v15, v7, s28, -v15
	v_add_f16_e32 v21, v21, v26
	v_mul_f16_e32 v26, 0xbbad, v22
	v_add_f16_e32 v15, v15, v27
	v_mul_f16_e32 v27, 0x3b47, v8
	v_add_f16_e32 v25, v25, v29
	v_add_f16_e32 v23, v23, v28
	v_fma_f16 v28, v17, s29, v26
	v_fma_f16 v26, v17, s31, v26
	;; [unrolled: 1-line block ×3, first 2 shown]
	v_fma_f16 v27, v7, s9, -v27
	v_add_f16_e32 v26, v26, v30
	v_mul_f16_e32 v30, 0x36a6, v22
	v_add_f16_e32 v27, v27, v31
	v_mul_f16_e32 v31, 0xb853, v8
	v_add_f16_e32 v28, v28, v32
	v_add_f16_e32 v29, v29, v33
	v_fma_f16 v32, v17, s8, v30
	v_fma_f16 v30, v17, s16, v30
	;; [unrolled: 1-line block ×3, first 2 shown]
	v_fma_f16 v31, v7, s19, -v31
	v_mul_f16_e32 v8, 0xba0c, v8
	v_add_f16_e32 v30, v30, v34
	v_mul_f16_e32 v34, 0x3abb, v22
	v_add_f16_e32 v31, v31, v35
	v_fma_f16 v35, v7, s25, v8
	v_mul_f16_e32 v22, 0xb93d, v22
	v_fma_f16 v7, v7, s25, -v8
	v_add_f16_e32 v6, v7, v6
	v_fma_f16 v7, v17, s24, v22
	v_add_f16_e32 v8, v9, v12
	v_sub_f16_e32 v9, v9, v12
	v_add_f16_e32 v5, v7, v5
	v_add_f16_e32 v7, v18, v20
	v_mul_f16_e32 v12, 0xba0c, v9
	v_add_f16_e32 v32, v32, v36
	v_add_f16_e32 v33, v33, v37
	v_fma_f16 v36, v17, s22, v34
	v_fma_f16 v34, v17, s18, v34
	;; [unrolled: 1-line block ×3, first 2 shown]
	v_sub_f16_e32 v17, v18, v20
	v_fma_f16 v18, v7, s25, v12
	v_mul_f16_e32 v20, 0xb93d, v8
	v_fma_f16 v12, v7, s25, -v12
	v_add_f16_e32 v12, v12, v13
	v_fma_f16 v13, v17, s24, v20
	v_add_f16_e32 v13, v13, v14
	v_mul_f16_e32 v14, 0x3beb, v9
	v_add_f16_e32 v18, v18, v21
	v_fma_f16 v21, v17, s26, v20
	v_fma_f16 v20, v7, s17, v14
	v_mul_f16_e32 v22, 0xb08e, v8
	v_fma_f16 v14, v7, s17, -v14
	v_add_f16_e32 v20, v20, v23
	v_fma_f16 v23, v17, s7, v22
	v_add_f16_e32 v14, v14, v15
	v_fma_f16 v15, v17, s23, v22
	v_mul_f16_e32 v22, 0xb853, v9
	v_add_f16_e32 v21, v21, v25
	v_fma_f16 v25, v7, s19, v22
	v_fma_f16 v22, v7, s19, -v22
	v_add_f16_e32 v15, v15, v26
	v_mul_f16_e32 v26, 0x3abb, v8
	v_add_f16_e32 v22, v22, v27
	v_mul_f16_e32 v27, 0xb482, v9
	v_add_f16_e32 v23, v23, v28
	v_add_f16_e32 v25, v25, v29
	v_fma_f16 v28, v17, s22, v26
	v_fma_f16 v26, v17, s18, v26
	;; [unrolled: 1-line block ×3, first 2 shown]
	v_fma_f16 v27, v7, s28, -v27
	v_mul_f16_e32 v9, 0x3b47, v9
	v_add_f16_e32 v26, v26, v30
	v_mul_f16_e32 v30, 0xbbad, v8
	v_add_f16_e32 v27, v27, v31
	v_fma_f16 v31, v7, s9, v9
	v_mul_f16_e32 v8, 0x36a6, v8
	v_fma_f16 v7, v7, s9, -v9
	v_add_f16_e32 v29, v29, v33
	v_fma_f16 v33, v17, s8, v8
	v_add_f16_e32 v6, v7, v6
	v_fma_f16 v7, v17, s16, v8
	v_add_f16_e32 v8, v10, v11
	v_sub_f16_e32 v10, v10, v11
	v_add_f16_e32 v5, v7, v5
	v_add_f16_e32 v7, v16, v19
	v_mul_f16_e32 v11, 0xb482, v10
	v_add_f16_e32 v28, v28, v32
	v_fma_f16 v32, v17, s31, v30
	v_fma_f16 v30, v17, s29, v30
	v_sub_f16_e32 v9, v16, v19
	v_fma_f16 v16, v7, s28, v11
	v_mul_f16_e32 v17, 0xbbad, v8
	v_fma_f16 v11, v7, s28, -v11
	v_add_f16_e32 v11, v11, v12
	v_fma_f16 v12, v9, s29, v17
	v_add_f16_e32 v12, v12, v13
	v_mul_f16_e32 v13, 0x3853, v10
	v_add_f16_e32 v16, v16, v18
	v_fma_f16 v18, v9, s31, v17
	v_fma_f16 v17, v7, s19, v13
	v_mul_f16_e32 v19, 0x3abb, v8
	v_fma_f16 v13, v7, s19, -v13
	v_add_f16_e32 v13, v13, v14
	v_fma_f16 v14, v9, s22, v19
	v_add_f16_e32 v14, v14, v15
	v_mul_f16_e32 v15, 0xba0c, v10
	v_add_f16_e32 v17, v17, v20
	v_fma_f16 v20, v9, s18, v19
	v_fma_f16 v19, v7, s25, v15
	v_fma_f16 v15, v7, s25, -v15
	v_add_f16_e32 v18, v18, v21
	v_mul_f16_e32 v21, 0xb93d, v8
	v_add_f16_e32 v15, v15, v22
	v_mul_f16_e32 v22, 0x3b47, v10
	v_add_f16_e32 v20, v20, v23
	v_add_f16_e32 v19, v19, v25
	v_fma_f16 v23, v9, s26, v21
	v_fma_f16 v21, v9, s24, v21
	;; [unrolled: 1-line block ×3, first 2 shown]
	v_fma_f16 v22, v7, s9, -v22
	v_mul_f16_e32 v10, 0xbbeb, v10
	v_add_f16_e32 v40, v40, v42
	v_add_f16_e32 v39, v39, v43
	;; [unrolled: 1-line block ×5, first 2 shown]
	v_mul_f16_e32 v26, 0x36a6, v8
	v_add_f16_e32 v22, v22, v27
	v_fma_f16 v27, v7, s17, v10
	v_mul_f16_e32 v8, 0xb08e, v8
	v_fma_f16 v7, v7, s17, -v10
	v_add_f16_e32 v36, v36, v40
	v_add_f16_e32 v35, v35, v39
	;; [unrolled: 1-line block ×5, first 2 shown]
	v_fma_f16 v28, v9, s8, v26
	v_fma_f16 v26, v9, s16, v26
	v_add_f16_e32 v6, v7, v6
	v_fma_f16 v7, v9, s7, v8
	v_add_f16_e32 v32, v32, v36
	v_add_f16_e32 v31, v31, v35
	;; [unrolled: 1-line block ×5, first 2 shown]
	v_fma_f16 v29, v9, s23, v8
	v_add_f16_e32 v5, v7, v5
	v_pack_b32_f16 v7, v16, v18
	v_add_f16_e32 v28, v28, v32
	v_add_f16_e32 v27, v27, v31
	;; [unrolled: 1-line block ×3, first 2 shown]
	ds_write2_b32 v2, v24, v7 offset1:11
	v_pack_b32_f16 v7, v17, v20
	v_pack_b32_f16 v8, v19, v23
	;; [unrolled: 1-line block ×4, first 2 shown]
	ds_write2_b32 v2, v7, v8 offset0:22 offset1:33
	v_pack_b32_f16 v7, v25, v28
	v_pack_b32_f16 v8, v27, v29
	ds_write2_b32 v2, v5, v6 offset0:66 offset1:77
	v_pack_b32_f16 v5, v15, v21
	v_pack_b32_f16 v6, v13, v14
	ds_write2_b32 v2, v7, v8 offset0:44 offset1:55
	ds_write2_b32 v2, v5, v6 offset0:88 offset1:99
	v_pack_b32_f16 v5, v11, v12
	v_mad_u64_u32 v[6:7], s[4:5], s12, v4, 0
	ds_write_b32 v2, v5 offset:440
	v_mov_b32_e32 v2, v7
	v_mad_u64_u32 v[8:9], s[4:5], s13, v4, v[2:3]
	s_add_u32 s4, s10, s2
	v_mul_lo_u32 v2, s15, v1
	v_mul_u32_u24_e32 v4, 0x1e8, v4
	v_lshlrev_b32_e32 v1, 2, v1
	s_addc_u32 s5, s11, s3
	s_lshl_b64 s[2:3], s[20:21], 2
	v_add3_u32 v1, 0, v4, v1
	s_add_u32 s2, s4, s2
	s_waitcnt lgkmcnt(0)
	s_barrier
	v_mov_b32_e32 v7, v8
	s_addc_u32 s3, s5, s3
	s_lshl_b64 s[0:1], s[0:1], 2
	ds_read2_b32 v[8:9], v1 offset1:11
	s_add_u32 s0, s2, s0
	s_addc_u32 s1, s3, s1
	v_lshl_add_u64 v[4:5], v[6:7], 2, s[0:1]
	v_lshl_add_u64 v[6:7], v[2:3], 2, v[4:5]
	s_waitcnt lgkmcnt(0)
	global_store_dword v[6:7], v8, off
	ds_read2_b32 v[6:7], v1 offset0:22 offset1:33
	s_mul_i32 s15, s15, 11
	v_add_u32_e32 v2, s15, v2
	v_lshl_add_u64 v[10:11], v[2:3], 2, v[4:5]
	v_add_u32_e32 v2, s15, v2
	global_store_dword v[10:11], v9, off
	v_lshl_add_u64 v[8:9], v[2:3], 2, v[4:5]
	s_waitcnt lgkmcnt(0)
	global_store_dword v[8:9], v6, off
	ds_read2_b32 v[8:9], v1 offset0:44 offset1:55
	v_add_u32_e32 v2, s15, v2
	v_lshl_add_u64 v[10:11], v[2:3], 2, v[4:5]
	v_add_u32_e32 v2, s15, v2
	global_store_dword v[10:11], v7, off
	v_lshl_add_u64 v[6:7], v[2:3], 2, v[4:5]
	s_waitcnt lgkmcnt(0)
	global_store_dword v[6:7], v8, off
	ds_read2_b32 v[6:7], v1 offset0:66 offset1:77
	;; [unrolled: 8-line block ×3, first 2 shown]
	v_add_u32_e32 v2, s15, v2
	v_lshl_add_u64 v[10:11], v[2:3], 2, v[4:5]
	v_add_u32_e32 v2, s15, v2
	global_store_dword v[10:11], v7, off
	v_lshl_add_u64 v[6:7], v[2:3], 2, v[4:5]
	s_waitcnt lgkmcnt(0)
	global_store_dword v[6:7], v8, off
	ds_read_b32 v8, v1 offset:440
	v_add_u32_e32 v2, s15, v2
	v_lshl_add_u64 v[6:7], v[2:3], 2, v[4:5]
	v_add_u32_e32 v2, s15, v2
	global_store_dword v[6:7], v9, off
	v_lshl_add_u64 v[6:7], v[2:3], 2, v[4:5]
	s_waitcnt lgkmcnt(0)
	global_store_dword v[6:7], v8, off
	s_and_saveexec_b64 s[0:1], vcc
	s_cbranch_execz .LBB0_2
; %bb.1:
	ds_read_b32 v6, v1 offset:484
	v_add_u32_e32 v2, s15, v2
	v_lshl_add_u64 v[0:1], v[2:3], 2, v[4:5]
	s_waitcnt lgkmcnt(0)
	global_store_dword v[0:1], v6, off
.LBB0_2:
	s_endpgm
	.section	.rodata,"a",@progbits
	.p2align	6, 0x0
	.amdhsa_kernel fft_rtc_back_len121_factors_11_11_wgs_121_tpt_11_half_op_CI_CI_sbrc_erc_z_xy_aligned
		.amdhsa_group_segment_fixed_size 0
		.amdhsa_private_segment_fixed_size 0
		.amdhsa_kernarg_size 104
		.amdhsa_user_sgpr_count 2
		.amdhsa_user_sgpr_dispatch_ptr 0
		.amdhsa_user_sgpr_queue_ptr 0
		.amdhsa_user_sgpr_kernarg_segment_ptr 1
		.amdhsa_user_sgpr_dispatch_id 0
		.amdhsa_user_sgpr_kernarg_preload_length 0
		.amdhsa_user_sgpr_kernarg_preload_offset 0
		.amdhsa_user_sgpr_private_segment_size 0
		.amdhsa_uses_dynamic_stack 0
		.amdhsa_enable_private_segment 0
		.amdhsa_system_sgpr_workgroup_id_x 1
		.amdhsa_system_sgpr_workgroup_id_y 0
		.amdhsa_system_sgpr_workgroup_id_z 0
		.amdhsa_system_sgpr_workgroup_info 0
		.amdhsa_system_vgpr_workitem_id 0
		.amdhsa_next_free_vgpr 45
		.amdhsa_next_free_sgpr 32
		.amdhsa_accum_offset 48
		.amdhsa_reserve_vcc 1
		.amdhsa_float_round_mode_32 0
		.amdhsa_float_round_mode_16_64 0
		.amdhsa_float_denorm_mode_32 3
		.amdhsa_float_denorm_mode_16_64 3
		.amdhsa_dx10_clamp 1
		.amdhsa_ieee_mode 1
		.amdhsa_fp16_overflow 0
		.amdhsa_tg_split 0
		.amdhsa_exception_fp_ieee_invalid_op 0
		.amdhsa_exception_fp_denorm_src 0
		.amdhsa_exception_fp_ieee_div_zero 0
		.amdhsa_exception_fp_ieee_overflow 0
		.amdhsa_exception_fp_ieee_underflow 0
		.amdhsa_exception_fp_ieee_inexact 0
		.amdhsa_exception_int_div_zero 0
	.end_amdhsa_kernel
	.text
.Lfunc_end0:
	.size	fft_rtc_back_len121_factors_11_11_wgs_121_tpt_11_half_op_CI_CI_sbrc_erc_z_xy_aligned, .Lfunc_end0-fft_rtc_back_len121_factors_11_11_wgs_121_tpt_11_half_op_CI_CI_sbrc_erc_z_xy_aligned
                                        ; -- End function
	.section	.AMDGPU.csdata,"",@progbits
; Kernel info:
; codeLenInByte = 5984
; NumSgprs: 38
; NumVgprs: 45
; NumAgprs: 0
; TotalNumVgprs: 45
; ScratchSize: 0
; MemoryBound: 0
; FloatMode: 240
; IeeeMode: 1
; LDSByteSize: 0 bytes/workgroup (compile time only)
; SGPRBlocks: 4
; VGPRBlocks: 5
; NumSGPRsForWavesPerEU: 38
; NumVGPRsForWavesPerEU: 45
; AccumOffset: 48
; Occupancy: 8
; WaveLimiterHint : 1
; COMPUTE_PGM_RSRC2:SCRATCH_EN: 0
; COMPUTE_PGM_RSRC2:USER_SGPR: 2
; COMPUTE_PGM_RSRC2:TRAP_HANDLER: 0
; COMPUTE_PGM_RSRC2:TGID_X_EN: 1
; COMPUTE_PGM_RSRC2:TGID_Y_EN: 0
; COMPUTE_PGM_RSRC2:TGID_Z_EN: 0
; COMPUTE_PGM_RSRC2:TIDIG_COMP_CNT: 0
; COMPUTE_PGM_RSRC3_GFX90A:ACCUM_OFFSET: 11
; COMPUTE_PGM_RSRC3_GFX90A:TG_SPLIT: 0
	.text
	.p2alignl 6, 3212836864
	.fill 256, 4, 3212836864
	.type	__hip_cuid_66ed5451fe764f6e,@object ; @__hip_cuid_66ed5451fe764f6e
	.section	.bss,"aw",@nobits
	.globl	__hip_cuid_66ed5451fe764f6e
__hip_cuid_66ed5451fe764f6e:
	.byte	0                               ; 0x0
	.size	__hip_cuid_66ed5451fe764f6e, 1

	.ident	"AMD clang version 19.0.0git (https://github.com/RadeonOpenCompute/llvm-project roc-6.4.0 25133 c7fe45cf4b819c5991fe208aaa96edf142730f1d)"
	.section	".note.GNU-stack","",@progbits
	.addrsig
	.addrsig_sym __hip_cuid_66ed5451fe764f6e
	.amdgpu_metadata
---
amdhsa.kernels:
  - .agpr_count:     0
    .args:
      - .actual_access:  read_only
        .address_space:  global
        .offset:         0
        .size:           8
        .value_kind:     global_buffer
      - .offset:         8
        .size:           8
        .value_kind:     by_value
      - .actual_access:  read_only
        .address_space:  global
        .offset:         16
        .size:           8
        .value_kind:     global_buffer
      - .actual_access:  read_only
        .address_space:  global
        .offset:         24
        .size:           8
        .value_kind:     global_buffer
      - .actual_access:  read_only
        .address_space:  global
        .offset:         32
        .size:           8
        .value_kind:     global_buffer
      - .offset:         40
        .size:           8
        .value_kind:     by_value
      - .actual_access:  read_only
        .address_space:  global
        .offset:         48
        .size:           8
        .value_kind:     global_buffer
      - .actual_access:  read_only
        .address_space:  global
        .offset:         56
        .size:           8
        .value_kind:     global_buffer
      - .offset:         64
        .size:           4
        .value_kind:     by_value
      - .actual_access:  read_only
        .address_space:  global
        .offset:         72
        .size:           8
        .value_kind:     global_buffer
      - .actual_access:  read_only
        .address_space:  global
        .offset:         80
        .size:           8
        .value_kind:     global_buffer
      - .actual_access:  read_only
        .address_space:  global
        .offset:         88
        .size:           8
        .value_kind:     global_buffer
      - .actual_access:  write_only
        .address_space:  global
        .offset:         96
        .size:           8
        .value_kind:     global_buffer
    .group_segment_fixed_size: 0
    .kernarg_segment_align: 8
    .kernarg_segment_size: 104
    .language:       OpenCL C
    .language_version:
      - 2
      - 0
    .max_flat_workgroup_size: 121
    .name:           fft_rtc_back_len121_factors_11_11_wgs_121_tpt_11_half_op_CI_CI_sbrc_erc_z_xy_aligned
    .private_segment_fixed_size: 0
    .sgpr_count:     38
    .sgpr_spill_count: 0
    .symbol:         fft_rtc_back_len121_factors_11_11_wgs_121_tpt_11_half_op_CI_CI_sbrc_erc_z_xy_aligned.kd
    .uniform_work_group_size: 1
    .uses_dynamic_stack: false
    .vgpr_count:     45
    .vgpr_spill_count: 0
    .wavefront_size: 64
amdhsa.target:   amdgcn-amd-amdhsa--gfx950
amdhsa.version:
  - 1
  - 2
...

	.end_amdgpu_metadata
